;; amdgpu-corpus repo=ROCm/rocFFT kind=compiled arch=gfx1201 opt=O3
	.text
	.amdgcn_target "amdgcn-amd-amdhsa--gfx1201"
	.amdhsa_code_object_version 6
	.protected	fft_rtc_fwd_len110_factors_2_5_11_wgs_198_tpt_11_half_op_CI_CI_unitstride_sbrr_C2R_dirReg ; -- Begin function fft_rtc_fwd_len110_factors_2_5_11_wgs_198_tpt_11_half_op_CI_CI_unitstride_sbrr_C2R_dirReg
	.globl	fft_rtc_fwd_len110_factors_2_5_11_wgs_198_tpt_11_half_op_CI_CI_unitstride_sbrr_C2R_dirReg
	.p2align	8
	.type	fft_rtc_fwd_len110_factors_2_5_11_wgs_198_tpt_11_half_op_CI_CI_unitstride_sbrr_C2R_dirReg,@function
fft_rtc_fwd_len110_factors_2_5_11_wgs_198_tpt_11_half_op_CI_CI_unitstride_sbrr_C2R_dirReg: ; @fft_rtc_fwd_len110_factors_2_5_11_wgs_198_tpt_11_half_op_CI_CI_unitstride_sbrr_C2R_dirReg
; %bb.0:
	s_load_b128 s[8:11], s[0:1], 0x0
	v_mul_u32_u24_e32 v1, 0x1746, v0
	s_clause 0x1
	s_load_b128 s[4:7], s[0:1], 0x58
	s_load_b128 s[12:15], s[0:1], 0x18
	v_mov_b32_e32 v9, 0
	v_mov_b32_e32 v7, 0
	;; [unrolled: 1-line block ×3, first 2 shown]
	v_lshrrev_b32_e32 v1, 16, v1
	s_delay_alu instid0(VALU_DEP_1) | instskip(NEXT) | instid1(VALU_DEP_4)
	v_mad_co_u64_u32 v[3:4], null, ttmp9, 18, v[1:2]
	v_dual_mov_b32 v4, v9 :: v_dual_mov_b32 v1, v7
	s_delay_alu instid0(VALU_DEP_4) | instskip(NEXT) | instid1(VALU_DEP_2)
	v_mov_b32_e32 v2, v8
	v_dual_mov_b32 v6, v4 :: v_dual_mov_b32 v5, v3
	s_wait_kmcnt 0x0
	v_cmp_lt_u64_e64 s2, s[10:11], 2
	s_delay_alu instid0(VALU_DEP_1)
	s_and_b32 vcc_lo, exec_lo, s2
	s_cbranch_vccnz .LBB0_8
; %bb.1:
	s_load_b64 s[2:3], s[0:1], 0x10
	v_dual_mov_b32 v7, 0 :: v_dual_mov_b32 v12, v4
	v_dual_mov_b32 v8, 0 :: v_dual_mov_b32 v11, v3
	s_delay_alu instid0(VALU_DEP_2) | instskip(SKIP_2) | instid1(VALU_DEP_2)
	v_mov_b32_e32 v1, v7
	s_add_nc_u64 s[16:17], s[14:15], 8
	s_add_nc_u64 s[18:19], s[12:13], 8
	v_mov_b32_e32 v2, v8
	s_mov_b64 s[20:21], 1
	s_wait_kmcnt 0x0
	s_add_nc_u64 s[22:23], s[2:3], 8
	s_mov_b32 s3, 0
.LBB0_2:                                ; =>This Inner Loop Header: Depth=1
	s_load_b64 s[24:25], s[22:23], 0x0
                                        ; implicit-def: $vgpr5_vgpr6
	s_mov_b32 s2, exec_lo
	s_wait_kmcnt 0x0
	v_or_b32_e32 v10, s25, v12
	s_delay_alu instid0(VALU_DEP_1)
	v_cmpx_ne_u64_e32 0, v[9:10]
	s_wait_alu 0xfffe
	s_xor_b32 s26, exec_lo, s2
	s_cbranch_execz .LBB0_4
; %bb.3:                                ;   in Loop: Header=BB0_2 Depth=1
	s_cvt_f32_u32 s2, s24
	s_cvt_f32_u32 s27, s25
	s_sub_nc_u64 s[30:31], 0, s[24:25]
	s_wait_alu 0xfffe
	s_delay_alu instid0(SALU_CYCLE_1) | instskip(SKIP_1) | instid1(SALU_CYCLE_2)
	s_fmamk_f32 s2, s27, 0x4f800000, s2
	s_wait_alu 0xfffe
	v_s_rcp_f32 s2, s2
	s_delay_alu instid0(TRANS32_DEP_1) | instskip(SKIP_1) | instid1(SALU_CYCLE_2)
	s_mul_f32 s2, s2, 0x5f7ffffc
	s_wait_alu 0xfffe
	s_mul_f32 s27, s2, 0x2f800000
	s_wait_alu 0xfffe
	s_delay_alu instid0(SALU_CYCLE_2) | instskip(SKIP_1) | instid1(SALU_CYCLE_2)
	s_trunc_f32 s27, s27
	s_wait_alu 0xfffe
	s_fmamk_f32 s2, s27, 0xcf800000, s2
	s_cvt_u32_f32 s29, s27
	s_wait_alu 0xfffe
	s_delay_alu instid0(SALU_CYCLE_1) | instskip(SKIP_1) | instid1(SALU_CYCLE_2)
	s_cvt_u32_f32 s28, s2
	s_wait_alu 0xfffe
	s_mul_u64 s[34:35], s[30:31], s[28:29]
	s_wait_alu 0xfffe
	s_mul_hi_u32 s37, s28, s35
	s_mul_i32 s36, s28, s35
	s_mul_hi_u32 s2, s28, s34
	s_mul_i32 s33, s29, s34
	s_wait_alu 0xfffe
	s_add_nc_u64 s[36:37], s[2:3], s[36:37]
	s_mul_hi_u32 s27, s29, s34
	s_mul_hi_u32 s38, s29, s35
	s_add_co_u32 s2, s36, s33
	s_wait_alu 0xfffe
	s_add_co_ci_u32 s2, s37, s27
	s_mul_i32 s34, s29, s35
	s_add_co_ci_u32 s35, s38, 0
	s_wait_alu 0xfffe
	s_add_nc_u64 s[34:35], s[2:3], s[34:35]
	s_wait_alu 0xfffe
	v_add_co_u32 v4, s2, s28, s34
	s_delay_alu instid0(VALU_DEP_1) | instskip(SKIP_1) | instid1(VALU_DEP_1)
	s_cmp_lg_u32 s2, 0
	s_add_co_ci_u32 s29, s29, s35
	v_readfirstlane_b32 s28, v4
	s_wait_alu 0xfffe
	s_delay_alu instid0(VALU_DEP_1)
	s_mul_u64 s[30:31], s[30:31], s[28:29]
	s_wait_alu 0xfffe
	s_mul_hi_u32 s35, s28, s31
	s_mul_i32 s34, s28, s31
	s_mul_hi_u32 s2, s28, s30
	s_mul_i32 s33, s29, s30
	s_wait_alu 0xfffe
	s_add_nc_u64 s[34:35], s[2:3], s[34:35]
	s_mul_hi_u32 s27, s29, s30
	s_mul_hi_u32 s28, s29, s31
	s_wait_alu 0xfffe
	s_add_co_u32 s2, s34, s33
	s_add_co_ci_u32 s2, s35, s27
	s_mul_i32 s30, s29, s31
	s_add_co_ci_u32 s31, s28, 0
	s_wait_alu 0xfffe
	s_add_nc_u64 s[30:31], s[2:3], s[30:31]
	s_wait_alu 0xfffe
	v_add_co_u32 v6, s2, v4, s30
	s_delay_alu instid0(VALU_DEP_1) | instskip(SKIP_1) | instid1(VALU_DEP_1)
	s_cmp_lg_u32 s2, 0
	s_add_co_ci_u32 s2, s29, s31
	v_mul_hi_u32 v10, v11, v6
	s_wait_alu 0xfffe
	v_mad_co_u64_u32 v[4:5], null, v11, s2, 0
	v_mad_co_u64_u32 v[13:14], null, v12, v6, 0
	;; [unrolled: 1-line block ×3, first 2 shown]
	s_delay_alu instid0(VALU_DEP_3) | instskip(SKIP_1) | instid1(VALU_DEP_4)
	v_add_co_u32 v4, vcc_lo, v10, v4
	s_wait_alu 0xfffd
	v_add_co_ci_u32_e32 v5, vcc_lo, 0, v5, vcc_lo
	s_delay_alu instid0(VALU_DEP_2) | instskip(SKIP_1) | instid1(VALU_DEP_2)
	v_add_co_u32 v4, vcc_lo, v4, v13
	s_wait_alu 0xfffd
	v_add_co_ci_u32_e32 v4, vcc_lo, v5, v14, vcc_lo
	s_wait_alu 0xfffd
	v_add_co_ci_u32_e32 v5, vcc_lo, 0, v16, vcc_lo
	s_delay_alu instid0(VALU_DEP_2) | instskip(SKIP_1) | instid1(VALU_DEP_2)
	v_add_co_u32 v10, vcc_lo, v4, v15
	s_wait_alu 0xfffd
	v_add_co_ci_u32_e32 v6, vcc_lo, 0, v5, vcc_lo
	s_delay_alu instid0(VALU_DEP_2) | instskip(SKIP_1) | instid1(VALU_DEP_3)
	v_mul_lo_u32 v13, s25, v10
	v_mad_co_u64_u32 v[4:5], null, s24, v10, 0
	v_mul_lo_u32 v14, s24, v6
	s_delay_alu instid0(VALU_DEP_2) | instskip(NEXT) | instid1(VALU_DEP_2)
	v_sub_co_u32 v4, vcc_lo, v11, v4
	v_add3_u32 v5, v5, v14, v13
	s_delay_alu instid0(VALU_DEP_1) | instskip(SKIP_1) | instid1(VALU_DEP_1)
	v_sub_nc_u32_e32 v13, v12, v5
	s_wait_alu 0xfffd
	v_subrev_co_ci_u32_e64 v13, s2, s25, v13, vcc_lo
	v_add_co_u32 v14, s2, v10, 2
	s_wait_alu 0xf1ff
	v_add_co_ci_u32_e64 v15, s2, 0, v6, s2
	v_sub_co_u32 v16, s2, v4, s24
	v_sub_co_ci_u32_e32 v5, vcc_lo, v12, v5, vcc_lo
	s_wait_alu 0xf1ff
	v_subrev_co_ci_u32_e64 v13, s2, 0, v13, s2
	s_delay_alu instid0(VALU_DEP_3) | instskip(NEXT) | instid1(VALU_DEP_3)
	v_cmp_le_u32_e32 vcc_lo, s24, v16
	v_cmp_eq_u32_e64 s2, s25, v5
	s_wait_alu 0xfffd
	v_cndmask_b32_e64 v16, 0, -1, vcc_lo
	v_cmp_le_u32_e32 vcc_lo, s25, v13
	s_wait_alu 0xfffd
	v_cndmask_b32_e64 v17, 0, -1, vcc_lo
	v_cmp_le_u32_e32 vcc_lo, s24, v4
	;; [unrolled: 3-line block ×3, first 2 shown]
	s_wait_alu 0xfffd
	v_cndmask_b32_e64 v18, 0, -1, vcc_lo
	v_cmp_eq_u32_e32 vcc_lo, s25, v13
	s_wait_alu 0xf1ff
	s_delay_alu instid0(VALU_DEP_2)
	v_cndmask_b32_e64 v4, v18, v4, s2
	s_wait_alu 0xfffd
	v_cndmask_b32_e32 v13, v17, v16, vcc_lo
	v_add_co_u32 v16, vcc_lo, v10, 1
	s_wait_alu 0xfffd
	v_add_co_ci_u32_e32 v17, vcc_lo, 0, v6, vcc_lo
	s_delay_alu instid0(VALU_DEP_3) | instskip(SKIP_1) | instid1(VALU_DEP_2)
	v_cmp_ne_u32_e32 vcc_lo, 0, v13
	s_wait_alu 0xfffd
	v_cndmask_b32_e32 v5, v17, v15, vcc_lo
	v_cndmask_b32_e32 v13, v16, v14, vcc_lo
	v_cmp_ne_u32_e32 vcc_lo, 0, v4
	s_wait_alu 0xfffd
	s_delay_alu instid0(VALU_DEP_3) | instskip(NEXT) | instid1(VALU_DEP_3)
	v_cndmask_b32_e32 v6, v6, v5, vcc_lo
	v_cndmask_b32_e32 v5, v10, v13, vcc_lo
.LBB0_4:                                ;   in Loop: Header=BB0_2 Depth=1
	s_wait_alu 0xfffe
	s_and_not1_saveexec_b32 s2, s26
	s_cbranch_execz .LBB0_6
; %bb.5:                                ;   in Loop: Header=BB0_2 Depth=1
	v_cvt_f32_u32_e32 v4, s24
	s_sub_co_i32 s26, 0, s24
	s_delay_alu instid0(VALU_DEP_1) | instskip(NEXT) | instid1(TRANS32_DEP_1)
	v_rcp_iflag_f32_e32 v4, v4
	v_mul_f32_e32 v4, 0x4f7ffffe, v4
	s_delay_alu instid0(VALU_DEP_1) | instskip(SKIP_1) | instid1(VALU_DEP_1)
	v_cvt_u32_f32_e32 v4, v4
	s_wait_alu 0xfffe
	v_mul_lo_u32 v5, s26, v4
	s_delay_alu instid0(VALU_DEP_1) | instskip(NEXT) | instid1(VALU_DEP_1)
	v_mul_hi_u32 v5, v4, v5
	v_add_nc_u32_e32 v4, v4, v5
	s_delay_alu instid0(VALU_DEP_1) | instskip(NEXT) | instid1(VALU_DEP_1)
	v_mul_hi_u32 v4, v11, v4
	v_mul_lo_u32 v5, v4, s24
	v_add_nc_u32_e32 v6, 1, v4
	s_delay_alu instid0(VALU_DEP_2) | instskip(NEXT) | instid1(VALU_DEP_1)
	v_sub_nc_u32_e32 v5, v11, v5
	v_subrev_nc_u32_e32 v10, s24, v5
	v_cmp_le_u32_e32 vcc_lo, s24, v5
	s_wait_alu 0xfffd
	s_delay_alu instid0(VALU_DEP_2) | instskip(SKIP_1) | instid1(VALU_DEP_2)
	v_cndmask_b32_e32 v5, v5, v10, vcc_lo
	v_cndmask_b32_e32 v4, v4, v6, vcc_lo
	v_cmp_le_u32_e32 vcc_lo, s24, v5
	s_delay_alu instid0(VALU_DEP_2) | instskip(SKIP_1) | instid1(VALU_DEP_1)
	v_add_nc_u32_e32 v6, 1, v4
	s_wait_alu 0xfffd
	v_dual_cndmask_b32 v5, v4, v6 :: v_dual_mov_b32 v6, v9
.LBB0_6:                                ;   in Loop: Header=BB0_2 Depth=1
	s_wait_alu 0xfffe
	s_or_b32 exec_lo, exec_lo, s2
	s_delay_alu instid0(VALU_DEP_1) | instskip(NEXT) | instid1(VALU_DEP_2)
	v_mul_lo_u32 v4, v6, s24
	v_mul_lo_u32 v10, v5, s25
	s_load_b64 s[26:27], s[18:19], 0x0
	v_mad_co_u64_u32 v[13:14], null, v5, s24, 0
	s_load_b64 s[24:25], s[16:17], 0x0
	s_add_nc_u64 s[20:21], s[20:21], 1
	s_add_nc_u64 s[16:17], s[16:17], 8
	s_wait_alu 0xfffe
	v_cmp_ge_u64_e64 s2, s[20:21], s[10:11]
	s_add_nc_u64 s[18:19], s[18:19], 8
	s_add_nc_u64 s[22:23], s[22:23], 8
	v_add3_u32 v4, v14, v10, v4
	v_sub_co_u32 v10, vcc_lo, v11, v13
	s_wait_alu 0xfffd
	s_delay_alu instid0(VALU_DEP_2) | instskip(SKIP_2) | instid1(VALU_DEP_1)
	v_sub_co_ci_u32_e32 v4, vcc_lo, v12, v4, vcc_lo
	s_and_b32 vcc_lo, exec_lo, s2
	s_wait_kmcnt 0x0
	v_mul_lo_u32 v11, s26, v4
	v_mul_lo_u32 v12, s27, v10
	v_mad_co_u64_u32 v[7:8], null, s26, v10, v[7:8]
	v_mul_lo_u32 v4, s24, v4
	v_mul_lo_u32 v13, s25, v10
	v_mad_co_u64_u32 v[1:2], null, s24, v10, v[1:2]
	s_delay_alu instid0(VALU_DEP_4) | instskip(NEXT) | instid1(VALU_DEP_2)
	v_add3_u32 v8, v12, v8, v11
	v_add3_u32 v2, v13, v2, v4
	s_wait_alu 0xfffe
	s_cbranch_vccnz .LBB0_8
; %bb.7:                                ;   in Loop: Header=BB0_2 Depth=1
	v_dual_mov_b32 v12, v6 :: v_dual_mov_b32 v11, v5
	s_branch .LBB0_2
.LBB0_8:
	s_load_b64 s[0:1], s[0:1], 0x28
	v_mul_hi_u32 v4, 0x38e38e39, v3
	v_mul_hi_u32 v9, 0x1745d175, v0
	s_lshl_b64 s[10:11], s[10:11], 3
	s_wait_alu 0xfffe
	s_add_nc_u64 s[2:3], s[14:15], s[10:11]
	s_delay_alu instid0(VALU_DEP_2) | instskip(NEXT) | instid1(VALU_DEP_1)
	v_lshrrev_b32_e32 v4, 2, v4
	v_mul_lo_u32 v4, v4, 18
	s_wait_kmcnt 0x0
	v_cmp_gt_u64_e32 vcc_lo, s[0:1], v[5:6]
	v_cmp_le_u64_e64 s0, s[0:1], v[5:6]
	s_delay_alu instid0(VALU_DEP_3) | instskip(NEXT) | instid1(VALU_DEP_2)
	v_sub_nc_u32_e32 v4, v3, v4
                                        ; implicit-def: $vgpr3
	s_and_saveexec_b32 s1, s0
	s_wait_alu 0xfffe
	s_xor_b32 s0, exec_lo, s1
; %bb.9:
	v_mul_u32_u24_e32 v3, 11, v9
                                        ; implicit-def: $vgpr9
                                        ; implicit-def: $vgpr7_vgpr8
	s_delay_alu instid0(VALU_DEP_1)
	v_sub_nc_u32_e32 v3, v0, v3
                                        ; implicit-def: $vgpr0
; %bb.10:
	s_wait_alu 0xfffe
	s_or_saveexec_b32 s1, s0
	s_load_b64 s[2:3], s[2:3], 0x0
	v_mul_u32_u24_e32 v4, 0x6f, v4
	s_delay_alu instid0(VALU_DEP_1)
	v_lshlrev_b32_e32 v11, 2, v4
	s_xor_b32 exec_lo, exec_lo, s1
	s_cbranch_execz .LBB0_14
; %bb.11:
	s_add_nc_u64 s[10:11], s[12:13], s[10:11]
	v_lshlrev_b64_e32 v[7:8], 2, v[7:8]
	s_load_b64 s[10:11], s[10:11], 0x0
	s_wait_kmcnt 0x0
	v_mul_lo_u32 v3, s11, v5
	v_mul_lo_u32 v10, s10, v6
	v_mad_co_u64_u32 v[12:13], null, s10, v5, 0
	s_delay_alu instid0(VALU_DEP_1) | instskip(SKIP_1) | instid1(VALU_DEP_2)
	v_add3_u32 v13, v13, v10, v3
	v_mul_u32_u24_e32 v3, 11, v9
	v_lshlrev_b64_e32 v[9:10], 2, v[12:13]
	s_delay_alu instid0(VALU_DEP_2) | instskip(NEXT) | instid1(VALU_DEP_1)
	v_sub_nc_u32_e32 v3, v0, v3
	v_lshlrev_b32_e32 v12, 2, v3
	s_delay_alu instid0(VALU_DEP_3) | instskip(SKIP_1) | instid1(VALU_DEP_4)
	v_add_co_u32 v0, s0, s4, v9
	s_wait_alu 0xf1ff
	v_add_co_ci_u32_e64 v9, s0, s5, v10, s0
	s_mov_b32 s4, exec_lo
	s_delay_alu instid0(VALU_DEP_2) | instskip(SKIP_1) | instid1(VALU_DEP_2)
	v_add_co_u32 v7, s0, v0, v7
	s_wait_alu 0xf1ff
	v_add_co_ci_u32_e64 v8, s0, v9, v8, s0
	v_add3_u32 v0, 0, v11, v12
	s_delay_alu instid0(VALU_DEP_3) | instskip(SKIP_1) | instid1(VALU_DEP_3)
	v_add_co_u32 v9, s0, v7, v12
	s_wait_alu 0xf1ff
	v_add_co_ci_u32_e64 v10, s0, 0, v8, s0
	s_clause 0x9
	global_load_b32 v13, v[9:10], off
	global_load_b32 v14, v[9:10], off offset:44
	global_load_b32 v15, v[9:10], off offset:88
	;; [unrolled: 1-line block ×9, first 2 shown]
	s_wait_loadcnt 0x8
	ds_store_2addr_b32 v0, v13, v14 offset1:11
	s_wait_loadcnt 0x6
	ds_store_2addr_b32 v0, v15, v16 offset0:22 offset1:33
	s_wait_loadcnt 0x4
	ds_store_2addr_b32 v0, v17, v18 offset0:44 offset1:55
	;; [unrolled: 2-line block ×4, first 2 shown]
	v_cmpx_eq_u32_e32 10, v3
	s_cbranch_execz .LBB0_13
; %bb.12:
	global_load_b32 v7, v[7:8], off offset:440
	v_mov_b32_e32 v3, 10
	s_wait_loadcnt 0x0
	ds_store_b32 v0, v7 offset:400
.LBB0_13:
	s_wait_alu 0xfffe
	s_or_b32 exec_lo, exec_lo, s4
.LBB0_14:
	s_delay_alu instid0(SALU_CYCLE_1)
	s_or_b32 exec_lo, exec_lo, s1
	v_lshl_add_u32 v0, v4, 2, 0
	v_lshlrev_b32_e32 v9, 2, v3
	global_wb scope:SCOPE_SE
	s_wait_dscnt 0x0
	s_wait_kmcnt 0x0
	s_barrier_signal -1
	s_barrier_wait -1
	global_inv scope:SCOPE_SE
	v_add_nc_u32_e32 v18, v0, v9
	v_sub_nc_u32_e32 v10, v0, v9
	s_mov_b32 s1, exec_lo
                                        ; implicit-def: $vgpr7_vgpr8
	ds_load_u16 v14, v18
	ds_load_u16 v15, v10 offset:440
	s_wait_dscnt 0x0
	v_add_f16_e32 v13, v15, v14
	v_sub_f16_e32 v12, v14, v15
	v_cmpx_ne_u32_e32 0, v3
	s_wait_alu 0xfffe
	s_xor_b32 s1, exec_lo, s1
	s_cbranch_execz .LBB0_16
; %bb.15:
	v_mov_b32_e32 v4, 0
	v_add_f16_e32 v13, v15, v14
	v_sub_f16_e32 v14, v14, v15
	s_delay_alu instid0(VALU_DEP_3) | instskip(NEXT) | instid1(VALU_DEP_1)
	v_lshlrev_b64_e32 v[7:8], 2, v[3:4]
	v_add_co_u32 v7, s0, s8, v7
	s_wait_alu 0xf1ff
	s_delay_alu instid0(VALU_DEP_2)
	v_add_co_ci_u32_e64 v8, s0, s9, v8, s0
	global_load_b32 v7, v[7:8], off offset:432
	ds_load_u16 v8, v10 offset:442
	ds_load_u16 v12, v18 offset:2
	s_wait_dscnt 0x0
	v_add_f16_e32 v15, v8, v12
	v_sub_f16_e32 v8, v12, v8
	s_wait_loadcnt 0x0
	v_lshrrev_b32_e32 v16, 16, v7
	s_delay_alu instid0(VALU_DEP_1) | instskip(NEXT) | instid1(VALU_DEP_3)
	v_fma_f16 v17, -v14, v16, v13
	v_fma_f16 v19, v15, v16, -v8
	v_fma_f16 v12, v15, v16, v8
	v_fma_f16 v13, v14, v16, v13
	s_delay_alu instid0(VALU_DEP_4) | instskip(NEXT) | instid1(VALU_DEP_4)
	v_fmac_f16_e32 v17, v7, v15
	v_fmac_f16_e32 v19, v14, v7
	s_delay_alu instid0(VALU_DEP_4) | instskip(NEXT) | instid1(VALU_DEP_4)
	v_fmac_f16_e32 v12, v14, v7
	v_fma_f16 v13, -v7, v15, v13
	v_dual_mov_b32 v8, v4 :: v_dual_mov_b32 v7, v3
	s_delay_alu instid0(VALU_DEP_4)
	v_pack_b32_f16 v14, v17, v19
	ds_store_b32 v10, v14 offset:440
.LBB0_16:
	s_wait_alu 0xfffe
	s_and_not1_saveexec_b32 s0, s1
	s_cbranch_execz .LBB0_18
; %bb.17:
	ds_load_b32 v4, v0 offset:220
	v_mov_b32_e32 v7, 0
	v_mov_b32_e32 v8, 0
	s_wait_dscnt 0x0
	v_pk_mul_f16 v4, 0xc0004000, v4
	ds_store_b32 v0, v4 offset:220
.LBB0_18:
	s_wait_alu 0xfffe
	s_or_b32 exec_lo, exec_lo, s0
	v_lshlrev_b64_e32 v[7:8], 2, v[7:8]
	s_add_nc_u64 s[0:1], s[8:9], 0x1b0
	v_add_nc_u32_e32 v23, 11, v3
	v_and_b32_e32 v24, 1, v3
	s_wait_alu 0xfffe
	s_delay_alu instid0(VALU_DEP_3)
	v_add_co_u32 v7, s0, s0, v7
	s_wait_alu 0xf1ff
	v_add_co_ci_u32_e64 v8, s0, s1, v8, s0
	v_and_b32_e32 v25, 1, v23
	v_lshlrev_b32_e32 v21, 3, v23
	v_lshlrev_b32_e32 v22, 4, v24
	s_clause 0x3
	global_load_b32 v4, v[7:8], off offset:44
	global_load_b32 v14, v[7:8], off offset:88
	;; [unrolled: 1-line block ×4, first 2 shown]
	v_perm_b32 v8, v12, v13, 0x5040100
	v_lshlrev_b32_e32 v26, 4, v25
	v_add3_u32 v21, 0, v21, v11
	v_cmp_gt_u32_e64 s0, 10, v3
	ds_store_b32 v18, v8
	ds_load_b32 v8, v18 offset:44
	ds_load_b32 v12, v10 offset:396
	s_wait_dscnt 0x1
	v_lshrrev_b32_e32 v13, 16, v8
	s_wait_dscnt 0x0
	v_lshrrev_b32_e32 v16, 16, v12
	v_add_f16_e32 v17, v8, v12
	v_sub_f16_e32 v8, v8, v12
	s_delay_alu instid0(VALU_DEP_3) | instskip(SKIP_3) | instid1(VALU_DEP_1)
	v_add_f16_e32 v12, v16, v13
	v_sub_f16_e32 v13, v13, v16
	s_wait_loadcnt 0x3
	v_lshrrev_b32_e32 v19, 16, v4
	v_fma_f16 v16, v8, v19, v17
	s_delay_alu instid0(VALU_DEP_3) | instskip(SKIP_2) | instid1(VALU_DEP_4)
	v_fma_f16 v20, v12, v19, v13
	v_fma_f16 v17, -v8, v19, v17
	v_fma_f16 v13, v12, v19, -v13
	v_fma_f16 v16, -v4, v12, v16
	s_delay_alu instid0(VALU_DEP_4) | instskip(NEXT) | instid1(VALU_DEP_4)
	v_fmac_f16_e32 v20, v8, v4
	v_fmac_f16_e32 v17, v4, v12
	s_delay_alu instid0(VALU_DEP_4) | instskip(NEXT) | instid1(VALU_DEP_3)
	v_fmac_f16_e32 v13, v8, v4
	v_pack_b32_f16 v4, v16, v20
	s_wait_loadcnt 0x2
	v_lshrrev_b32_e32 v16, 16, v14
	s_delay_alu instid0(VALU_DEP_3)
	v_pack_b32_f16 v8, v17, v13
	v_lshlrev_b32_e32 v20, 3, v3
	ds_store_b32 v18, v4 offset:44
	ds_store_b32 v10, v8 offset:396
	ds_load_b32 v4, v18 offset:88
	ds_load_b32 v8, v10 offset:352
	v_add3_u32 v20, v20, 0, v11
	s_wait_dscnt 0x1
	v_lshrrev_b32_e32 v12, 16, v4
	s_wait_dscnt 0x0
	v_lshrrev_b32_e32 v13, 16, v8
	v_add_f16_e32 v17, v4, v8
	v_sub_f16_e32 v4, v4, v8
	s_delay_alu instid0(VALU_DEP_3) | instskip(SKIP_1) | instid1(VALU_DEP_3)
	v_add_f16_e32 v8, v13, v12
	v_sub_f16_e32 v12, v12, v13
	v_fma_f16 v13, v4, v16, v17
	v_fma_f16 v17, -v4, v16, v17
	s_delay_alu instid0(VALU_DEP_3) | instskip(SKIP_1) | instid1(VALU_DEP_4)
	v_fma_f16 v19, v8, v16, v12
	v_fma_f16 v12, v8, v16, -v12
	v_fma_f16 v13, -v14, v8, v13
	s_delay_alu instid0(VALU_DEP_4) | instskip(NEXT) | instid1(VALU_DEP_4)
	v_fmac_f16_e32 v17, v14, v8
	v_fmac_f16_e32 v19, v4, v14
	s_delay_alu instid0(VALU_DEP_4) | instskip(SKIP_2) | instid1(VALU_DEP_3)
	v_fmac_f16_e32 v12, v4, v14
	s_wait_loadcnt 0x1
	v_lshrrev_b32_e32 v14, 16, v15
	v_pack_b32_f16 v4, v13, v19
	s_delay_alu instid0(VALU_DEP_3)
	v_pack_b32_f16 v8, v17, v12
	ds_store_b32 v18, v4 offset:88
	ds_store_b32 v10, v8 offset:352
	ds_load_b32 v4, v18 offset:132
	ds_load_b32 v8, v10 offset:308
	s_wait_dscnt 0x1
	v_lshrrev_b32_e32 v12, 16, v4
	s_wait_dscnt 0x0
	v_lshrrev_b32_e32 v13, 16, v8
	v_add_f16_e32 v16, v4, v8
	v_sub_f16_e32 v4, v4, v8
	s_delay_alu instid0(VALU_DEP_3) | instskip(SKIP_1) | instid1(VALU_DEP_3)
	v_add_f16_e32 v8, v13, v12
	v_sub_f16_e32 v12, v12, v13
	v_fma_f16 v13, v4, v14, v16
	v_fma_f16 v16, -v4, v14, v16
	s_delay_alu instid0(VALU_DEP_3) | instskip(SKIP_1) | instid1(VALU_DEP_4)
	v_fma_f16 v17, v8, v14, v12
	v_fma_f16 v12, v8, v14, -v12
	v_fma_f16 v13, -v15, v8, v13
	s_delay_alu instid0(VALU_DEP_4) | instskip(SKIP_4) | instid1(VALU_DEP_2)
	v_fmac_f16_e32 v16, v15, v8
	s_wait_loadcnt 0x0
	v_lshrrev_b32_e32 v14, 16, v7
	v_fmac_f16_e32 v17, v4, v15
	v_fmac_f16_e32 v12, v4, v15
	v_pack_b32_f16 v4, v13, v17
	s_delay_alu instid0(VALU_DEP_2)
	v_pack_b32_f16 v8, v16, v12
	ds_store_b32 v18, v4 offset:132
	ds_store_b32 v10, v8 offset:308
	ds_load_b32 v4, v18 offset:176
	ds_load_b32 v8, v10 offset:264
	s_wait_dscnt 0x1
	v_lshrrev_b32_e32 v12, 16, v4
	s_wait_dscnt 0x0
	v_lshrrev_b32_e32 v13, 16, v8
	v_add_f16_e32 v15, v4, v8
	v_sub_f16_e32 v4, v4, v8
	s_delay_alu instid0(VALU_DEP_3) | instskip(SKIP_1) | instid1(VALU_DEP_3)
	v_add_f16_e32 v8, v13, v12
	v_sub_f16_e32 v12, v12, v13
	v_fma_f16 v13, v4, v14, v15
	v_fma_f16 v15, -v4, v14, v15
	s_delay_alu instid0(VALU_DEP_3) | instskip(SKIP_1) | instid1(VALU_DEP_4)
	v_fma_f16 v16, v8, v14, v12
	v_fma_f16 v12, v8, v14, -v12
	v_fma_f16 v13, -v7, v8, v13
	s_delay_alu instid0(VALU_DEP_4) | instskip(NEXT) | instid1(VALU_DEP_4)
	v_fmac_f16_e32 v15, v7, v8
	v_fmac_f16_e32 v16, v4, v7
	s_delay_alu instid0(VALU_DEP_4) | instskip(SKIP_1) | instid1(VALU_DEP_3)
	v_fmac_f16_e32 v12, v4, v7
	v_add3_u32 v4, 0, v9, v11
	v_pack_b32_f16 v7, v13, v16
	s_delay_alu instid0(VALU_DEP_3)
	v_pack_b32_f16 v8, v15, v12
	ds_store_b32 v18, v7 offset:176
	ds_store_b32 v10, v8 offset:264
	global_wb scope:SCOPE_SE
	s_wait_dscnt 0x0
	s_barrier_signal -1
	s_barrier_wait -1
	global_inv scope:SCOPE_SE
	global_wb scope:SCOPE_SE
	s_barrier_signal -1
	s_barrier_wait -1
	global_inv scope:SCOPE_SE
	ds_load_2addr_b32 v[7:8], v4 offset0:55 offset1:66
	ds_load_2addr_b32 v[12:13], v4 offset0:11 offset1:22
	ds_load_b32 v10, v18
	ds_load_2addr_b32 v[14:15], v4 offset0:77 offset1:88
	ds_load_2addr_b32 v[16:17], v4 offset0:33 offset1:44
	ds_load_b32 v19, v4 offset:396
	v_add_nc_u32_e32 v9, v4, v9
	global_wb scope:SCOPE_SE
	s_wait_dscnt 0x0
	s_barrier_signal -1
	s_barrier_wait -1
	global_inv scope:SCOPE_SE
	v_pk_add_f16 v8, v12, v8 neg_lo:[0,1] neg_hi:[0,1]
	v_pk_add_f16 v7, v10, v7 neg_lo:[0,1] neg_hi:[0,1]
	v_pk_add_f16 v14, v13, v14 neg_lo:[0,1] neg_hi:[0,1]
	v_pk_add_f16 v15, v16, v15 neg_lo:[0,1] neg_hi:[0,1]
	v_pk_add_f16 v19, v17, v19 neg_lo:[0,1] neg_hi:[0,1]
	v_pk_fma_f16 v12, v12, 2.0, v8 op_sel_hi:[1,0,1] neg_lo:[0,0,1] neg_hi:[0,0,1]
	v_pk_fma_f16 v10, v10, 2.0, v7 op_sel_hi:[1,0,1] neg_lo:[0,0,1] neg_hi:[0,0,1]
	;; [unrolled: 1-line block ×5, first 2 shown]
	ds_store_2addr_b32 v9, v10, v7 offset1:1
	ds_store_2addr_b32 v20, v13, v14 offset0:44 offset1:45
	ds_store_2addr_b32 v21, v12, v8 offset1:1
	ds_store_2addr_b32 v9, v16, v15 offset0:66 offset1:67
	ds_store_2addr_b32 v20, v17, v19 offset0:88 offset1:89
	global_wb scope:SCOPE_SE
	s_wait_dscnt 0x0
	s_barrier_signal -1
	s_barrier_wait -1
	global_inv scope:SCOPE_SE
	s_clause 0x1
	global_load_b128 v[12:15], v22, s[8:9]
	global_load_b128 v[19:22], v26, s[8:9]
	v_lshrrev_b32_e32 v7, 1, v3
	v_lshrrev_b32_e32 v8, 1, v23
	s_delay_alu instid0(VALU_DEP_2) | instskip(NEXT) | instid1(VALU_DEP_2)
	v_mul_u32_u24_e32 v7, 10, v7
	v_mul_u32_u24_e32 v8, 10, v8
	s_delay_alu instid0(VALU_DEP_2)
	v_or_b32_e32 v27, v7, v24
	ds_load_b32 v7, v18
	ds_load_2addr_b32 v[9:10], v4 offset0:11 offset1:22
	ds_load_2addr_b32 v[16:17], v4 offset0:55 offset1:66
	;; [unrolled: 1-line block ×3, first 2 shown]
	ds_load_b32 v28, v4 offset:396
	v_or_b32_e32 v8, v8, v25
	ds_load_2addr_b32 v[25:26], v4 offset0:33 offset1:44
	ds_load_u16 v31, v4 offset:134
	v_lshlrev_b32_e32 v27, 2, v27
	global_wb scope:SCOPE_SE
	s_wait_loadcnt_dscnt 0x0
	v_lshlrev_b32_e32 v8, 2, v8
	s_barrier_signal -1
	s_barrier_wait -1
	v_add3_u32 v27, 0, v27, v11
	global_inv scope:SCOPE_SE
	v_add3_u32 v11, 0, v8, v11
	v_lshrrev_b32_e32 v30, 16, v7
	v_lshrrev_b32_e32 v34, 16, v10
	;; [unrolled: 1-line block ×17, first 2 shown]
	v_mul_f16_e32 v46, v38, v34
	v_mul_f16_e32 v38, v38, v10
	;; [unrolled: 1-line block ×16, first 2 shown]
	v_fma_f16 v10, v12, v10, -v46
	v_fmac_f16_e32 v38, v12, v34
	v_fma_f16 v12, v13, v26, -v47
	v_fmac_f16_e32 v39, v13, v35
	;; [unrolled: 2-line block ×8, first 2 shown]
	v_add_f16_e32 v8, v7, v10
	v_add_f16_e32 v17, v12, v13
	;; [unrolled: 1-line block ×6, first 2 shown]
	v_sub_f16_e32 v20, v38, v41
	v_sub_f16_e32 v23, v10, v12
	;; [unrolled: 1-line block ×10, first 2 shown]
	v_add_f16_e32 v38, v9, v15
	v_add_f16_e32 v47, v16, v19
	;; [unrolled: 1-line block ×6, first 2 shown]
	v_sub_f16_e32 v46, v12, v13
	v_add_f16_e32 v12, v8, v12
	v_fma_f16 v8, -0.5, v17, v7
	v_fmac_f16_e32 v7, -0.5, v25
	v_add_f16_e32 v25, v31, v39
	v_fma_f16 v31, -0.5, v32, v30
	v_sub_f16_e32 v22, v39, v40
	v_fmac_f16_e32 v30, -0.5, v34
	v_sub_f16_e32 v48, v42, v45
	v_sub_f16_e32 v50, v15, v16
	;; [unrolled: 1-line block ×6, first 2 shown]
	v_add_f16_e32 v23, v23, v24
	v_add_f16_e32 v24, v26, v28
	;; [unrolled: 1-line block ×5, first 2 shown]
	v_fma_f16 v10, -0.5, v47, v9
	v_fma_f16 v32, -0.5, v56, v29
	v_sub_f16_e32 v49, v43, v44
	v_sub_f16_e32 v58, v16, v19
	v_fmac_f16_e32 v9, -0.5, v52
	v_add_f16_e32 v36, v55, v43
	v_fmac_f16_e32 v29, -0.5, v60
	v_fmamk_f16 v16, v20, 0x3b9c, v8
	v_fmamk_f16 v33, v37, 0xbb9c, v31
	;; [unrolled: 1-line block ×3, first 2 shown]
	v_fmac_f16_e32 v7, 0x3b9c, v22
	v_fmamk_f16 v34, v46, 0x3b9c, v30
	v_fmac_f16_e32 v30, 0xbb9c, v46
	v_fmac_f16_e32 v8, 0xbb9c, v20
	;; [unrolled: 1-line block ×3, first 2 shown]
	v_sub_f16_e32 v51, v21, v19
	v_sub_f16_e32 v42, v43, v42
	v_add_f16_e32 v43, v15, v59
	v_add_f16_e32 v25, v25, v40
	;; [unrolled: 1-line block ×3, first 2 shown]
	v_fmamk_f16 v15, v48, 0x3b9c, v10
	v_fmamk_f16 v35, v57, 0xbb9c, v32
	v_sub_f16_e32 v54, v19, v21
	v_sub_f16_e32 v61, v44, v45
	v_add_f16_e32 v13, v12, v13
	v_fmamk_f16 v12, v49, 0xbb9c, v9
	v_fmac_f16_e32 v9, 0x3b9c, v49
	v_add_f16_e32 v44, v36, v44
	v_fmamk_f16 v36, v58, 0x3b9c, v29
	v_fmac_f16_e32 v29, 0xbb9c, v58
	v_fmac_f16_e32 v10, 0xbb9c, v48
	;; [unrolled: 1-line block ×11, first 2 shown]
	v_add_f16_e32 v38, v50, v51
	v_fmac_f16_e32 v15, 0x38b4, v49
	v_fmac_f16_e32 v35, 0xb8b4, v58
	v_add_f16_e32 v39, v53, v54
	v_add_f16_e32 v42, v42, v61
	v_fmac_f16_e32 v12, 0x38b4, v48
	v_fmac_f16_e32 v9, 0xb8b4, v48
	;; [unrolled: 1-line block ×4, first 2 shown]
	v_add_f16_e32 v19, v13, v14
	v_add_f16_e32 v20, v25, v41
	v_fmac_f16_e32 v10, 0xb8b4, v49
	v_fmac_f16_e32 v32, 0x38b4, v58
	;; [unrolled: 1-line block ×10, first 2 shown]
	v_add_f16_e32 v14, v40, v21
	v_add_f16_e32 v37, v44, v45
	v_fmac_f16_e32 v15, 0x34f2, v38
	v_fmac_f16_e32 v35, 0x34f2, v43
	;; [unrolled: 1-line block ×8, first 2 shown]
	v_pack_b32_f16 v13, v19, v20
	v_pack_b32_f16 v22, v16, v33
	;; [unrolled: 1-line block ×10, first 2 shown]
	ds_store_2addr_b32 v27, v13, v22 offset1:2
	ds_store_2addr_b32 v27, v23, v24 offset0:4 offset1:6
	ds_store_b32 v27, v25 offset:32
	ds_store_2addr_b32 v11, v21, v26 offset1:2
	ds_store_2addr_b32 v11, v28, v38 offset0:4 offset1:6
	ds_store_b32 v11, v39 offset:32
	global_wb scope:SCOPE_SE
	s_wait_dscnt 0x0
	s_barrier_signal -1
	s_barrier_wait -1
	global_inv scope:SCOPE_SE
                                        ; implicit-def: $vgpr38
	s_and_saveexec_b32 s1, s0
	s_cbranch_execz .LBB0_20
; %bb.19:
	ds_load_b32 v19, v18
	ds_load_2addr_b32 v[12:13], v4 offset0:70 offset1:80
	ds_load_2addr_b32 v[10:11], v4 offset0:90 offset1:100
	;; [unrolled: 1-line block ×5, first 2 shown]
	s_wait_dscnt 0x5
	v_lshrrev_b32_e32 v20, 16, v19
	s_wait_dscnt 0x4
	v_lshrrev_b32_e32 v29, 16, v13
	;; [unrolled: 2-line block ×3, first 2 shown]
	v_lshrrev_b32_e32 v38, 16, v11
	s_wait_dscnt 0x2
	v_lshrrev_b32_e32 v33, 16, v16
	v_lshrrev_b32_e32 v34, 16, v17
	s_wait_dscnt 0x1
	v_lshrrev_b32_e32 v30, 16, v7
	;; [unrolled: 3-line block ×3, first 2 shown]
	v_lshrrev_b32_e32 v35, 16, v15
	v_lshrrev_b32_e32 v36, 16, v12
	v_mov_b32_e32 v9, v13
.LBB0_20:
	s_wait_alu 0xfffe
	s_or_b32 exec_lo, exec_lo, s1
	global_wb scope:SCOPE_SE
	s_barrier_signal -1
	s_barrier_wait -1
	global_inv scope:SCOPE_SE
	s_and_saveexec_b32 s1, s0
	s_cbranch_execz .LBB0_22
; %bb.21:
	v_dual_mov_b32 v22, 0 :: v_dual_add_nc_u32 v13, -10, v3
	s_delay_alu instid0(VALU_DEP_1) | instskip(NEXT) | instid1(VALU_DEP_1)
	v_cndmask_b32_e64 v13, v13, v3, s0
	v_mul_i32_i24_e32 v21, 10, v13
	s_delay_alu instid0(VALU_DEP_1) | instskip(NEXT) | instid1(VALU_DEP_1)
	v_lshlrev_b64_e32 v[21:22], 2, v[21:22]
	v_add_co_u32 v21, s0, s8, v21
	s_wait_alu 0xf1ff
	s_delay_alu instid0(VALU_DEP_2)
	v_add_co_ci_u32_e64 v22, s0, s9, v22, s0
	s_clause 0x2
	global_load_b128 v[39:42], v[21:22], off offset:32
	global_load_b128 v[43:46], v[21:22], off offset:48
	global_load_b64 v[47:48], v[21:22], off offset:64
	s_wait_loadcnt 0x2
	v_lshrrev_b32_e32 v21, 16, v39
	v_lshrrev_b32_e32 v22, 16, v40
	;; [unrolled: 1-line block ×4, first 2 shown]
	s_wait_loadcnt 0x1
	v_lshrrev_b32_e32 v49, 16, v43
	s_wait_loadcnt 0x0
	v_lshrrev_b32_e32 v25, 16, v48
	v_lshrrev_b32_e32 v50, 16, v44
	;; [unrolled: 1-line block ×5, first 2 shown]
	v_mul_f16_e32 v13, v11, v25
	v_mul_f16_e32 v52, v16, v21
	;; [unrolled: 1-line block ×20, first 2 shown]
	v_fmac_f16_e32 v13, v38, v48
	v_fmac_f16_e32 v52, v33, v39
	v_fma_f16 v53, v16, v39, -v53
	v_fma_f16 v11, v11, v48, -v54
	v_fmac_f16_e32 v21, v32, v47
	v_fmac_f16_e32 v28, v34, v40
	v_fma_f16 v39, v17, v40, -v55
	v_fma_f16 v10, v10, v47, -v56
	;; [unrolled: 4-line block ×5, first 2 shown]
	v_add_f16_e32 v15, v52, v13
	v_sub_f16_e32 v38, v53, v11
	v_add_f16_e32 v29, v28, v21
	v_sub_f16_e32 v37, v39, v10
	;; [unrolled: 2-line block ×5, first 2 shown]
	v_sub_f16_e32 v40, v52, v13
	v_sub_f16_e32 v41, v28, v21
	v_add_f16_e32 v42, v19, v53
	v_add_f16_e32 v43, v20, v52
	;; [unrolled: 1-line block ×4, first 2 shown]
	v_mul_f16_e32 v50, 0x36a6, v15
	v_mul_f16_e32 v51, 0xb93d, v29
	;; [unrolled: 1-line block ×35, first 2 shown]
	v_add_f16_e32 v39, v42, v39
	v_add_f16_e32 v28, v43, v28
	v_add_f16_e32 v45, v17, v7
	v_fmamk_f16 v93, v38, 0x3b47, v50
	v_fmamk_f16 v94, v37, 0x3a0c, v51
	;; [unrolled: 1-line block ×21, first 2 shown]
	v_fmac_f16_e32 v71, 0xb482, v38
	v_fmac_f16_e32 v64, 0xba0c, v38
	v_fmac_f16_e32 v57, 0xbbeb, v38
	v_fmac_f16_e32 v50, 0xbb47, v38
	v_fmamk_f16 v38, v36, 0x3a0c, v73
	v_fmac_f16_e32 v72, 0x3853, v37
	v_fmac_f16_e32 v65, 0x3beb, v37
	v_fmac_f16_e32 v58, 0x3482, v37
	v_fmac_f16_e32 v51, 0xba0c, v37
	v_fmamk_f16 v37, v35, 0xbb47, v74
	v_fmac_f16_e32 v73, 0xba0c, v36
	v_fmac_f16_e32 v66, 0xb853, v36
	v_fmac_f16_e32 v59, 0x3b47, v36
	v_fmac_f16_e32 v52, 0x3482, v36
	v_fmamk_f16 v36, v34, 0x3beb, v75
	v_fmac_f16_e32 v74, 0x3b47, v35
	v_fmac_f16_e32 v67, 0xb482, v35
	v_fmac_f16_e32 v60, 0xb853, v35
	v_fmac_f16_e32 v53, 0x3beb, v35
	v_fmamk_f16 v35, v33, 0xbbad, v76
	v_fmac_f16_e32 v75, 0xbbeb, v34
	v_fma_f16 v76, v33, 0xbbad, -v76
	v_fmac_f16_e32 v68, 0x3b47, v34
	v_fma_f16 v69, v33, 0xb93d, -v69
	;; [unrolled: 2-line block ×4, first 2 shown]
	v_fmamk_f16 v55, v15, 0x3abb, v78
	v_fma_f16 v15, v15, 0x3abb, -v78
	v_fmamk_f16 v78, v29, 0x36a6, v79
	v_fma_f16 v29, v29, 0x36a6, -v79
	;; [unrolled: 2-line block ×5, first 2 shown]
	v_fma_f16 v82, v33, 0x3abb, -v40
	v_fmac_f16_e32 v40, 0x3abb, v33
	v_fmamk_f16 v33, v14, 0x3abb, v77
	v_fma_f16 v77, v14, 0x3abb, -v77
	v_fma_f16 v70, v14, 0xb08e, -v70
	v_fmamk_f16 v114, v14, 0xbbad, v63
	v_fma_f16 v63, v14, 0xbbad, -v63
	v_fmamk_f16 v115, v14, 0xb93d, v56
	v_fma_f16 v56, v14, 0xb93d, -v56
	v_fma_f16 v116, v14, 0x36a6, -v41
	v_fmac_f16_e32 v41, 0x36a6, v14
	v_add_f16_e32 v14, v28, v27
	v_add_f16_e32 v17, v39, v17
	v_sub_f16_e32 v44, v27, v22
	v_sub_f16_e32 v46, v26, v23
	;; [unrolled: 1-line block ×3, first 2 shown]
	v_add_f16_e32 v47, v16, v8
	v_add_f16_e32 v16, v17, v16
	;; [unrolled: 1-line block ×4, first 2 shown]
	v_mul_f16_e32 v42, 0xba0c, v44
	v_mul_f16_e32 v43, 0x3482, v44
	;; [unrolled: 1-line block ×15, first 2 shown]
	v_add_f16_e32 v12, v16, v12
	v_add_f16_e32 v14, v14, v25
	v_fmamk_f16 v27, v45, 0xb93d, v42
	v_fma_f16 v28, v45, 0xb93d, -v42
	v_fmamk_f16 v39, v45, 0x3abb, v83
	v_fma_f16 v42, v45, 0x3abb, -v83
	v_fmamk_f16 v83, v45, 0x36a6, v84
	v_fma_f16 v84, v45, 0x36a6, -v84
	v_fmamk_f16 v117, v45, 0xbbad, v43
	v_fma_f16 v43, v45, 0xbbad, -v43
	v_fma_f16 v118, v45, 0xb08e, -v44
	v_fmac_f16_e32 v44, 0xb08e, v45
	v_fmamk_f16 v45, v47, 0x36a6, v88
	v_fma_f16 v88, v47, 0x36a6, -v88
	v_fmamk_f16 v119, v47, 0xbbad, v87
	v_fma_f16 v87, v47, 0xbbad, -v87
	v_fmamk_f16 v120, v47, 0x3abb, v86
	v_fma_f16 v86, v47, 0x3abb, -v86
	v_fmamk_f16 v121, v47, 0xb08e, v85
	v_fma_f16 v85, v47, 0xb08e, -v85
	v_fma_f16 v122, v47, 0xb93d, -v46
	v_fmac_f16_e32 v46, 0xb93d, v47
	;; [unrolled: 10-line block ×3, first 2 shown]
	v_add_f16_e32 v17, v20, v93
	v_add_f16_e32 v26, v20, v99
	v_add_f16_e32 v49, v20, v105
	v_add_f16_e32 v93, v20, v112
	v_add_f16_e32 v71, v20, v71
	v_add_f16_e32 v64, v20, v64
	v_add_f16_e32 v57, v20, v57
	v_add_f16_e32 v50, v20, v50
	v_add_f16_e32 v55, v20, v55
	v_add_f16_e32 v15, v20, v15
	v_add_f16_e32 v20, v19, v98
	v_add_f16_e32 v98, v19, v104
	v_add_f16_e32 v99, v19, v110
	v_add_f16_e32 v35, v19, v35
	v_add_f16_e32 v76, v19, v76
	v_add_f16_e32 v69, v19, v69
	v_add_f16_e32 v34, v19, v34
	v_add_f16_e32 v82, v19, v82
	v_add_f16_e32 v62, v19, v62
	v_add_f16_e32 v9, v12, v9
	v_add_f16_e32 v12, v14, v24
	v_add_f16_e32 v19, v19, v40
	v_add_f16_e32 v17, v94, v17
	v_add_f16_e32 v20, v115, v20
	v_add_f16_e32 v26, v100, v26
	v_add_f16_e32 v40, v114, v98
	v_add_f16_e32 v49, v106, v49
	v_add_f16_e32 v94, v111, v99
	v_add_f16_e32 v93, v113, v93
	v_add_f16_e32 v33, v33, v35
	v_add_f16_e32 v35, v72, v71
	v_add_f16_e32 v71, v77, v76
	v_add_f16_e32 v64, v65, v64
	v_add_f16_e32 v65, v70, v69
	v_add_f16_e32 v57, v58, v57
	v_add_f16_e32 v50, v51, v50
	v_add_f16_e32 v34, v56, v34
	v_add_f16_e32 v51, v78, v55
	v_add_f16_e32 v55, v116, v82
	v_add_f16_e32 v58, v63, v62
	v_add_f16_e32 v8, v9, v8
	v_add_f16_e32 v9, v12, v23
	v_add_f16_e32 v15, v29, v15
	v_add_f16_e32 v16, v41, v19
	v_add_f16_e32 v17, v95, v17
	v_add_f16_e32 v19, v117, v20
	v_add_f16_e32 v20, v101, v26
	v_add_f16_e32 v25, v83, v40
	v_add_f16_e32 v26, v107, v49
	v_add_f16_e32 v29, v39, v94
	v_add_f16_e32 v38, v38, v93
	v_add_f16_e32 v27, v27, v33
	v_add_f16_e32 v33, v73, v35
	v_add_f16_e32 v28, v28, v71
	v_add_f16_e32 v35, v66, v64
	v_add_f16_e32 v39, v42, v65
	v_add_f16_e32 v40, v59, v57
	v_add_f16_e32 v42, v52, v50
	v_add_f16_e32 v34, v43, v34
	v_add_f16_e32 v43, v79, v51
	v_add_f16_e32 v49, v118, v55
	v_add_f16_e32 v41, v84, v58
	v_add_f16_e32 v7, v8, v7
	v_add_f16_e32 v8, v9, v22
	v_add_f16_e32 v14, v30, v15
	v_add_f16_e32 v15, v44, v16
	v_add_f16_e32 v16, v96, v17
	v_add_f16_e32 v17, v121, v19
	v_add_f16_e32 v19, v102, v20
	v_add_f16_e32 v20, v120, v25
	v_add_f16_e32 v24, v108, v26
	v_add_f16_e32 v25, v119, v29
	v_add_f16_e32 v26, v37, v38
	v_add_f16_e32 v27, v45, v27
	v_add_f16_e32 v29, v74, v33
	v_add_f16_e32 v28, v88, v28
	v_add_f16_e32 v30, v67, v35
	v_add_f16_e32 v33, v87, v39
	v_add_f16_e32 v35, v60, v40
	v_add_f16_e32 v38, v53, v42
	v_add_f16_e32 v34, v85, v34
	v_add_f16_e32 v39, v80, v43
	v_add_f16_e32 v40, v122, v49
	v_add_f16_e32 v37, v86, v41
	v_add_f16_e32 v7, v7, v10
	v_add_f16_e32 v8, v8, v21
	v_add_f16_e32 v12, v31, v14
	v_add_f16_e32 v14, v46, v15
	v_add_f16_e32 v15, v97, v16
	v_add_f16_e32 v16, v125, v17
	v_add_f16_e32 v17, v103, v19
	v_add_f16_e32 v19, v124, v20
	v_add_f16_e32 v20, v109, v24
	v_add_f16_e32 v23, v123, v25
	v_add_f16_e32 v24, v36, v26
	v_add_f16_e32 v25, v47, v27
	v_add_f16_e32 v26, v75, v29
	v_add_f16_e32 v27, v92, v28
	v_add_f16_e32 v28, v68, v30
	v_add_f16_e32 v29, v91, v33
	v_add_f16_e32 v30, v61, v35
	v_add_f16_e32 v33, v54, v38
	v_add_f16_e32 v34, v89, v34
	v_add_f16_e32 v35, v81, v39
	v_add_f16_e32 v9, v126, v40
	v_add_f16_e32 v31, v90, v37
	v_add_f16_e32 v7, v7, v11
	v_add_f16_e32 v8, v8, v13
	v_add_f16_e32 v12, v32, v12
	v_add_f16_e32 v14, v48, v14
	v_pack_b32_f16 v9, v9, v35
	v_pack_b32_f16 v10, v34, v33
	;; [unrolled: 1-line block ×11, first 2 shown]
	ds_store_2addr_b32 v4, v9, v10 offset0:10 offset1:20
	ds_store_2addr_b32 v4, v21, v22 offset0:30 offset1:40
	;; [unrolled: 1-line block ×4, first 2 shown]
	ds_store_b32 v18, v7
	ds_store_2addr_b32 v4, v15, v12 offset0:90 offset1:100
.LBB0_22:
	s_wait_alu 0xfffe
	s_or_b32 exec_lo, exec_lo, s1
	global_wb scope:SCOPE_SE
	s_wait_dscnt 0x0
	s_barrier_signal -1
	s_barrier_wait -1
	global_inv scope:SCOPE_SE
	s_and_saveexec_b32 s0, vcc_lo
	s_cbranch_execz .LBB0_24
; %bb.23:
	v_mul_lo_u32 v7, s3, v5
	v_mul_lo_u32 v8, s2, v6
	v_mad_co_u64_u32 v[5:6], null, s2, v5, 0
	v_mov_b32_e32 v4, 0
	v_lshl_add_u32 v29, v3, 2, v0
	v_lshlrev_b64_e32 v[0:1], 2, v[1:2]
	v_add_nc_u32_e32 v21, 0x42, v3
	v_add_nc_u32_e32 v23, 0x4d, v3
	;; [unrolled: 1-line block ×3, first 2 shown]
	v_add3_u32 v6, v6, v8, v7
	v_add_nc_u32_e32 v7, 11, v3
	v_dual_mov_b32 v8, v4 :: v_dual_add_nc_u32 v9, 22, v3
	v_lshlrev_b64_e32 v[13:14], 2, v[3:4]
	s_delay_alu instid0(VALU_DEP_4)
	v_lshlrev_b64_e32 v[5:6], 2, v[5:6]
	v_dual_mov_b32 v10, v4 :: v_dual_add_nc_u32 v11, 33, v3
	v_mov_b32_e32 v12, v4
	v_mov_b32_e32 v20, v4
	;; [unrolled: 1-line block ×3, first 2 shown]
	v_add_co_u32 v2, vcc_lo, s6, v5
	s_wait_alu 0xfffd
	v_add_co_ci_u32_e32 v5, vcc_lo, s7, v6, vcc_lo
	ds_load_2addr_b32 v[15:16], v29 offset1:11
	v_add_co_u32 v31, vcc_lo, v2, v0
	s_wait_alu 0xfffd
	v_add_co_ci_u32_e32 v32, vcc_lo, v5, v1, vcc_lo
	v_lshlrev_b64_e32 v[0:1], 2, v[7:8]
	s_delay_alu instid0(VALU_DEP_3)
	v_add_co_u32 v5, vcc_lo, v31, v13
	v_lshlrev_b64_e32 v[7:8], 2, v[9:10]
	s_wait_alu 0xfffd
	v_add_co_ci_u32_e32 v6, vcc_lo, v32, v14, vcc_lo
	v_dual_mov_b32 v14, v4 :: v_dual_add_nc_u32 v13, 44, v3
	v_add_nc_u32_e32 v19, 55, v3
	v_add_co_u32 v0, vcc_lo, v31, v0
	v_lshlrev_b64_e32 v[11:12], 2, v[11:12]
	s_wait_alu 0xfffd
	v_add_co_ci_u32_e32 v1, vcc_lo, v32, v1, vcc_lo
	v_add_co_u32 v7, vcc_lo, v31, v7
	v_lshlrev_b64_e32 v[13:14], 2, v[13:14]
	s_wait_alu 0xfffd
	v_add_co_ci_u32_e32 v8, vcc_lo, v32, v8, vcc_lo
	v_add_co_u32 v11, vcc_lo, v31, v11
	v_lshlrev_b64_e32 v[19:20], 2, v[19:20]
	v_mov_b32_e32 v24, v4
	ds_load_2addr_b32 v[9:10], v29 offset0:22 offset1:33
	s_wait_alu 0xfffd
	v_add_co_ci_u32_e32 v12, vcc_lo, v32, v12, vcc_lo
	v_add_co_u32 v13, vcc_lo, v31, v13
	v_lshlrev_b64_e32 v[21:22], 2, v[21:22]
	ds_load_2addr_b32 v[17:18], v29 offset0:44 offset1:55
	v_dual_mov_b32 v28, v4 :: v_dual_add_nc_u32 v3, 0x63, v3
	s_wait_alu 0xfffd
	v_add_co_ci_u32_e32 v14, vcc_lo, v32, v14, vcc_lo
	v_add_co_u32 v19, vcc_lo, v31, v19
	ds_load_2addr_b32 v[25:26], v29 offset0:66 offset1:77
	v_lshlrev_b64_e32 v[23:24], 2, v[23:24]
	s_wait_alu 0xfffd
	v_add_co_ci_u32_e32 v20, vcc_lo, v32, v20, vcc_lo
	ds_load_2addr_b32 v[29:30], v29 offset0:88 offset1:99
	v_add_co_u32 v21, vcc_lo, v31, v21
	v_lshlrev_b64_e32 v[27:28], 2, v[27:28]
	s_wait_alu 0xfffd
	v_add_co_ci_u32_e32 v22, vcc_lo, v32, v22, vcc_lo
	v_add_co_u32 v23, vcc_lo, v31, v23
	v_lshlrev_b64_e32 v[2:3], 2, v[3:4]
	s_wait_alu 0xfffd
	v_add_co_ci_u32_e32 v24, vcc_lo, v32, v24, vcc_lo
	v_add_co_u32 v27, vcc_lo, v31, v27
	s_wait_alu 0xfffd
	v_add_co_ci_u32_e32 v28, vcc_lo, v32, v28, vcc_lo
	v_add_co_u32 v2, vcc_lo, v31, v2
	s_wait_alu 0xfffd
	v_add_co_ci_u32_e32 v3, vcc_lo, v32, v3, vcc_lo
	s_wait_dscnt 0x4
	s_clause 0x1
	global_store_b32 v[5:6], v15, off
	global_store_b32 v[0:1], v16, off
	s_wait_dscnt 0x3
	s_clause 0x1
	global_store_b32 v[7:8], v9, off
	global_store_b32 v[11:12], v10, off
	;; [unrolled: 4-line block ×5, first 2 shown]
.LBB0_24:
	s_nop 0
	s_sendmsg sendmsg(MSG_DEALLOC_VGPRS)
	s_endpgm
	.section	.rodata,"a",@progbits
	.p2align	6, 0x0
	.amdhsa_kernel fft_rtc_fwd_len110_factors_2_5_11_wgs_198_tpt_11_half_op_CI_CI_unitstride_sbrr_C2R_dirReg
		.amdhsa_group_segment_fixed_size 0
		.amdhsa_private_segment_fixed_size 0
		.amdhsa_kernarg_size 104
		.amdhsa_user_sgpr_count 2
		.amdhsa_user_sgpr_dispatch_ptr 0
		.amdhsa_user_sgpr_queue_ptr 0
		.amdhsa_user_sgpr_kernarg_segment_ptr 1
		.amdhsa_user_sgpr_dispatch_id 0
		.amdhsa_user_sgpr_private_segment_size 0
		.amdhsa_wavefront_size32 1
		.amdhsa_uses_dynamic_stack 0
		.amdhsa_enable_private_segment 0
		.amdhsa_system_sgpr_workgroup_id_x 1
		.amdhsa_system_sgpr_workgroup_id_y 0
		.amdhsa_system_sgpr_workgroup_id_z 0
		.amdhsa_system_sgpr_workgroup_info 0
		.amdhsa_system_vgpr_workitem_id 0
		.amdhsa_next_free_vgpr 127
		.amdhsa_next_free_sgpr 39
		.amdhsa_reserve_vcc 1
		.amdhsa_float_round_mode_32 0
		.amdhsa_float_round_mode_16_64 0
		.amdhsa_float_denorm_mode_32 3
		.amdhsa_float_denorm_mode_16_64 3
		.amdhsa_fp16_overflow 0
		.amdhsa_workgroup_processor_mode 1
		.amdhsa_memory_ordered 1
		.amdhsa_forward_progress 0
		.amdhsa_round_robin_scheduling 0
		.amdhsa_exception_fp_ieee_invalid_op 0
		.amdhsa_exception_fp_denorm_src 0
		.amdhsa_exception_fp_ieee_div_zero 0
		.amdhsa_exception_fp_ieee_overflow 0
		.amdhsa_exception_fp_ieee_underflow 0
		.amdhsa_exception_fp_ieee_inexact 0
		.amdhsa_exception_int_div_zero 0
	.end_amdhsa_kernel
	.text
.Lfunc_end0:
	.size	fft_rtc_fwd_len110_factors_2_5_11_wgs_198_tpt_11_half_op_CI_CI_unitstride_sbrr_C2R_dirReg, .Lfunc_end0-fft_rtc_fwd_len110_factors_2_5_11_wgs_198_tpt_11_half_op_CI_CI_unitstride_sbrr_C2R_dirReg
                                        ; -- End function
	.section	.AMDGPU.csdata,"",@progbits
; Kernel info:
; codeLenInByte = 7668
; NumSgprs: 41
; NumVgprs: 127
; ScratchSize: 0
; MemoryBound: 0
; FloatMode: 240
; IeeeMode: 1
; LDSByteSize: 0 bytes/workgroup (compile time only)
; SGPRBlocks: 5
; VGPRBlocks: 15
; NumSGPRsForWavesPerEU: 41
; NumVGPRsForWavesPerEU: 127
; Occupancy: 10
; WaveLimiterHint : 1
; COMPUTE_PGM_RSRC2:SCRATCH_EN: 0
; COMPUTE_PGM_RSRC2:USER_SGPR: 2
; COMPUTE_PGM_RSRC2:TRAP_HANDLER: 0
; COMPUTE_PGM_RSRC2:TGID_X_EN: 1
; COMPUTE_PGM_RSRC2:TGID_Y_EN: 0
; COMPUTE_PGM_RSRC2:TGID_Z_EN: 0
; COMPUTE_PGM_RSRC2:TIDIG_COMP_CNT: 0
	.text
	.p2alignl 7, 3214868480
	.fill 96, 4, 3214868480
	.type	__hip_cuid_a75b187af5dbf0d7,@object ; @__hip_cuid_a75b187af5dbf0d7
	.section	.bss,"aw",@nobits
	.globl	__hip_cuid_a75b187af5dbf0d7
__hip_cuid_a75b187af5dbf0d7:
	.byte	0                               ; 0x0
	.size	__hip_cuid_a75b187af5dbf0d7, 1

	.ident	"AMD clang version 19.0.0git (https://github.com/RadeonOpenCompute/llvm-project roc-6.4.0 25133 c7fe45cf4b819c5991fe208aaa96edf142730f1d)"
	.section	".note.GNU-stack","",@progbits
	.addrsig
	.addrsig_sym __hip_cuid_a75b187af5dbf0d7
	.amdgpu_metadata
---
amdhsa.kernels:
  - .args:
      - .actual_access:  read_only
        .address_space:  global
        .offset:         0
        .size:           8
        .value_kind:     global_buffer
      - .offset:         8
        .size:           8
        .value_kind:     by_value
      - .actual_access:  read_only
        .address_space:  global
        .offset:         16
        .size:           8
        .value_kind:     global_buffer
      - .actual_access:  read_only
        .address_space:  global
        .offset:         24
        .size:           8
        .value_kind:     global_buffer
      - .actual_access:  read_only
        .address_space:  global
        .offset:         32
        .size:           8
        .value_kind:     global_buffer
      - .offset:         40
        .size:           8
        .value_kind:     by_value
      - .actual_access:  read_only
        .address_space:  global
        .offset:         48
        .size:           8
        .value_kind:     global_buffer
      - .actual_access:  read_only
        .address_space:  global
        .offset:         56
        .size:           8
        .value_kind:     global_buffer
      - .offset:         64
        .size:           4
        .value_kind:     by_value
      - .actual_access:  read_only
        .address_space:  global
        .offset:         72
        .size:           8
        .value_kind:     global_buffer
      - .actual_access:  read_only
        .address_space:  global
        .offset:         80
        .size:           8
        .value_kind:     global_buffer
      - .actual_access:  read_only
        .address_space:  global
        .offset:         88
        .size:           8
        .value_kind:     global_buffer
      - .actual_access:  write_only
        .address_space:  global
        .offset:         96
        .size:           8
        .value_kind:     global_buffer
    .group_segment_fixed_size: 0
    .kernarg_segment_align: 8
    .kernarg_segment_size: 104
    .language:       OpenCL C
    .language_version:
      - 2
      - 0
    .max_flat_workgroup_size: 198
    .name:           fft_rtc_fwd_len110_factors_2_5_11_wgs_198_tpt_11_half_op_CI_CI_unitstride_sbrr_C2R_dirReg
    .private_segment_fixed_size: 0
    .sgpr_count:     41
    .sgpr_spill_count: 0
    .symbol:         fft_rtc_fwd_len110_factors_2_5_11_wgs_198_tpt_11_half_op_CI_CI_unitstride_sbrr_C2R_dirReg.kd
    .uniform_work_group_size: 1
    .uses_dynamic_stack: false
    .vgpr_count:     127
    .vgpr_spill_count: 0
    .wavefront_size: 32
    .workgroup_processor_mode: 1
amdhsa.target:   amdgcn-amd-amdhsa--gfx1201
amdhsa.version:
  - 1
  - 2
...

	.end_amdgpu_metadata
